;; amdgpu-corpus repo=ROCm/hip-tests kind=compiled arch=gfx906 opt=O3
	.amdgcn_target "amdgcn-amd-amdhsa--gfx906"
	.amdhsa_code_object_version 6
	.text
	.protected	_Z14fp16_arith_gpuPfS_S_ ; -- Begin function _Z14fp16_arith_gpuPfS_S_
	.globl	_Z14fp16_arith_gpuPfS_S_
	.p2align	8
	.type	_Z14fp16_arith_gpuPfS_S_,@function
_Z14fp16_arith_gpuPfS_S_:               ; @_Z14fp16_arith_gpuPfS_S_
; %bb.0:
	s_load_dwordx4 s[0:3], s[4:5], 0x0
	s_load_dwordx2 s[6:7], s[4:5], 0x10
	s_movk_i32 s8, 0x1f8
	s_waitcnt lgkmcnt(0)
	s_load_dword s4, s[0:1], 0x0
	s_load_dword s5, s[2:3], 0x0
	s_waitcnt lgkmcnt(0)
	v_cvt_f16_f32_e32 v0, s4
	v_cvt_f16_f32_e32 v1, s5
	s_movk_i32 s4, 0x202c
	s_movk_i32 s5, 0x292d
	v_add_f16_e32 v0, v0, v1
	v_cvt_f32_f16_e32 v1, v0
	v_mov_b32_e32 v0, 0
	global_store_dword v0, v1, s[6:7]
	global_load_dword v1, v0, s[0:1] offset:4
	s_nop 0
	global_load_dword v2, v0, s[2:3] offset:4
	s_waitcnt vmcnt(1)
	v_cvt_f16_f32_e32 v1, v1
	s_waitcnt vmcnt(0)
	v_cvt_f16_f32_e32 v2, v2
	v_sub_f16_e32 v1, v1, v2
	v_cvt_f32_f16_e32 v1, v1
	global_store_dword v0, v1, s[6:7] offset:4
	global_load_dword v1, v0, s[0:1] offset:8
	s_nop 0
	global_load_dword v2, v0, s[2:3] offset:8
	s_waitcnt vmcnt(1)
	v_cvt_f16_f32_e32 v1, v1
	s_waitcnt vmcnt(0)
	v_cvt_f16_f32_e32 v2, v2
	v_mul_f16_e32 v1, v1, v2
	v_cvt_f32_f16_e32 v1, v1
	global_store_dword v0, v1, s[6:7] offset:8
	global_load_dword v1, v0, s[2:3] offset:12
	s_nop 0
	global_load_dword v2, v0, s[0:1] offset:12
	s_mov_b32 s2, 0xbfc90000
	s_mov_b32 s3, 0xb5aa2217
	s_waitcnt vmcnt(1)
	v_cvt_f16_f32_e32 v1, v1
	s_waitcnt vmcnt(0)
	v_cvt_f16_f32_e32 v2, v2
	v_cvt_f32_f16_e32 v3, v1
	v_cvt_f32_f16_e32 v4, v2
	v_rcp_f32_e32 v5, v3
	v_mul_f32_e32 v6, v4, v5
	v_mad_f32 v7, -v3, v6, v4
	v_mac_f32_e32 v6, v7, v5
	v_mad_f32 v3, -v3, v6, v4
	v_mul_f32_e32 v3, v3, v5
	v_and_b32_e32 v3, 0xff800000, v3
	v_add_f32_e32 v3, v3, v6
	v_cvt_f16_f32_e32 v3, v3
	v_mov_b32_e32 v4, 0xb7ff
	v_mov_b32_e32 v5, 0x7e00
	v_div_fixup_f16 v1, v3, v1, v2
	v_cvt_f32_f16_e32 v1, v1
	v_mov_b32_e32 v2, 0xb155
	global_store_dword v0, v1, s[6:7] offset:12
	global_load_dword v1, v0, s[0:1] offset:16
	s_waitcnt vmcnt(0)
	v_cvt_f16_f32_e32 v1, v1
	v_floor_f16_e32 v1, v1
	v_cvt_f32_f16_e32 v1, v1
	global_store_dword v0, v1, s[6:7] offset:16
	global_load_dword v1, v0, s[0:1] offset:20
	s_waitcnt vmcnt(0)
	v_cvt_f16_f32_e32 v1, v1
	v_trunc_f16_e32 v1, v1
	v_cvt_f32_f16_e32 v1, v1
	global_store_dword v0, v1, s[6:7] offset:20
	global_load_dword v1, v0, s[0:1] offset:24
	s_waitcnt vmcnt(0)
	v_cvt_f16_f32_e32 v1, v1
	v_ceil_f16_e32 v1, v1
	v_cvt_f32_f16_e32 v1, v1
	global_store_dword v0, v1, s[6:7] offset:24
	global_load_dword v1, v0, s[0:1] offset:28
	s_waitcnt vmcnt(0)
	v_cvt_f16_f32_e32 v1, v1
	v_rndne_f16_e32 v1, v1
	v_cvt_f32_f16_e32 v1, v1
	global_store_dword v0, v1, s[6:7] offset:28
	global_load_dword v1, v0, s[0:1] offset:32
	s_waitcnt vmcnt(0)
	v_cvt_f16_f32_e32 v1, v1
	v_cvt_f32_f16_e64 v3, |v1|
	v_cmp_class_f16_e64 vcc, v1, s8
	v_mul_f32_e32 v3, 0x3f22f983, v3
	v_rndne_f32_e32 v3, v3
	v_fma_mix_f32 v6, v3, s2, |v1| op_sel_hi:[0,0,1]
	v_fmac_f32_e32 v6, 0xb9fd0000, v3
	v_cvt_i32_f32_e32 v7, v3
	v_fma_mixlo_f16 v3, v3, s3, v6
	v_mul_f16_e32 v6, v3, v3
	v_fma_f16 v8, v6, s4, v2
	v_fma_f16 v9, v6, s5, v4
	v_mul_f16_e32 v8, v6, v8
	v_fma_f16 v6, v6, v9, 1.0
	v_lshlrev_b32_e32 v10, 4, v7
	v_lshlrev_b32_e32 v7, 14, v7
	v_fma_f16 v3, v3, v8, v3
	v_lshlrev_b32_e32 v6, 16, v6
	v_xor_b32_e32 v7, v7, v1
	v_or_b32_sdwa v3, v6, v3 dst_sel:DWORD dst_unused:UNUSED_PAD src0_sel:DWORD src1_sel:WORD_0
	v_and_b32_e32 v7, 0x8000, v7
	v_lshrrev_b32_e32 v3, v10, v3
	v_xor_b32_e32 v3, v7, v3
	v_cndmask_b32_e32 v1, v5, v3, vcc
	v_cvt_f32_f16_e32 v1, v1
	global_store_dword v0, v1, s[6:7] offset:32
	global_load_dword v1, v0, s[0:1] offset:36
	s_waitcnt vmcnt(0)
	v_cvt_f16_f32_e32 v1, v1
	v_cvt_f32_f16_e64 v3, |v1|
	v_mul_f32_e32 v3, 0x3f22f983, v3
	v_rndne_f32_e32 v3, v3
	v_fma_mix_f32 v6, v3, s2, |v1| op_sel_hi:[0,0,1]
	v_fmac_f32_e32 v6, 0xb9fd0000, v3
	v_cvt_i32_f32_e32 v7, v3
	v_fma_mixlo_f16 v3, v3, s3, v6
	v_mul_f16_e32 v6, v3, v3
	v_fma_f16 v2, v6, s4, v2
	v_mul_f16_e32 v2, v6, v2
	v_fma_f16 v4, v6, s5, v4
	v_and_b32_e32 v8, 1, v7
	v_fma_f16 v2, v3, v2, v3
	v_lshlrev_b32_e32 v7, 14, v7
	v_fma_f16 v4, v6, v4, 1.0
	v_xor_b32_e32 v2, 0x8000, v2
	v_cmp_eq_u32_e32 vcc, 0, v8
	v_and_b32_e32 v6, 0x8000, v7
	v_cndmask_b32_e32 v2, v2, v4, vcc
	v_xor_b32_e32 v2, v6, v2
	v_cmp_class_f16_e64 vcc, v1, s8
	v_cndmask_b32_e32 v1, v5, v2, vcc
	v_cvt_f32_f16_e32 v1, v1
	s_mov_b32 s2, 0x3f317218
	global_store_dword v0, v1, s[6:7] offset:36
	global_load_dword v1, v0, s[0:1] offset:40
	s_waitcnt vmcnt(0)
	v_cvt_f16_f32_e32 v1, v1
	v_cvt_f32_f16_e32 v1, v1
	v_mul_f32_e32 v1, 0x3fb8aa3b, v1
	v_exp_f32_e32 v1, v1
	v_cvt_f16_f32_e32 v1, v1
	v_cvt_f32_f16_e32 v1, v1
	global_store_dword v0, v1, s[6:7] offset:40
	global_load_dword v1, v0, s[0:1] offset:44
	s_waitcnt vmcnt(0)
	v_cvt_f16_f32_e32 v1, v1
	v_exp_f16_e32 v1, v1
	v_cvt_f32_f16_e32 v1, v1
	global_store_dword v0, v1, s[6:7] offset:44
	global_load_dword v1, v0, s[0:1] offset:48
	s_waitcnt vmcnt(0)
	v_cvt_f16_f32_e32 v1, v1
	v_log_f16_e32 v1, v1
	v_cvt_f32_f16_e32 v1, v1
	global_store_dword v0, v1, s[6:7] offset:48
	global_load_dword v1, v0, s[0:1] offset:52
	s_waitcnt vmcnt(0)
	v_cvt_f16_f32_e32 v1, v1
	v_cvt_f32_f16_e32 v1, v1
	v_log_f32_e32 v1, v1
	v_fma_mixlo_f16 v1, v1, s2, 0
	v_cvt_f32_f16_e32 v1, v1
	s_mov_b32 s2, 0x3e9a209b
	global_store_dword v0, v1, s[6:7] offset:52
	global_load_dword v1, v0, s[0:1] offset:56
	s_waitcnt vmcnt(0)
	v_cvt_f16_f32_e32 v1, v1
	v_cvt_f32_f16_e32 v1, v1
	v_log_f32_e32 v1, v1
	v_fma_mixlo_f16 v1, v1, s2, 0
	v_cvt_f32_f16_e32 v1, v1
	global_store_dword v0, v1, s[6:7] offset:56
	global_load_dword v1, v0, s[0:1] offset:60
	s_waitcnt vmcnt(0)
	v_cvt_f16_f32_e32 v1, v1
	v_sqrt_f16_e32 v1, v1
	v_cvt_f32_f16_e32 v1, v1
	global_store_dword v0, v1, s[6:7] offset:60
	global_load_dword v1, v0, s[0:1] offset:64
	s_waitcnt vmcnt(0)
	v_cvt_f16_f32_e64 v1, -v1
	v_cvt_f32_f16_e32 v1, v1
	global_store_dword v0, v1, s[6:7] offset:64
	global_load_dword v1, v0, s[0:1] offset:68
	s_waitcnt vmcnt(0)
	v_cvt_f16_f32_e32 v1, v1
	v_rcp_f16_e32 v1, v1
	v_cvt_f32_f16_e32 v1, v1
	global_store_dword v0, v1, s[6:7] offset:68
	s_endpgm
	.section	.rodata,"a",@progbits
	.p2align	6, 0x0
	.amdhsa_kernel _Z14fp16_arith_gpuPfS_S_
		.amdhsa_group_segment_fixed_size 0
		.amdhsa_private_segment_fixed_size 0
		.amdhsa_kernarg_size 24
		.amdhsa_user_sgpr_count 6
		.amdhsa_user_sgpr_private_segment_buffer 1
		.amdhsa_user_sgpr_dispatch_ptr 0
		.amdhsa_user_sgpr_queue_ptr 0
		.amdhsa_user_sgpr_kernarg_segment_ptr 1
		.amdhsa_user_sgpr_dispatch_id 0
		.amdhsa_user_sgpr_flat_scratch_init 0
		.amdhsa_user_sgpr_private_segment_size 0
		.amdhsa_uses_dynamic_stack 0
		.amdhsa_system_sgpr_private_segment_wavefront_offset 0
		.amdhsa_system_sgpr_workgroup_id_x 1
		.amdhsa_system_sgpr_workgroup_id_y 0
		.amdhsa_system_sgpr_workgroup_id_z 0
		.amdhsa_system_sgpr_workgroup_info 0
		.amdhsa_system_vgpr_workitem_id 0
		.amdhsa_next_free_vgpr 11
		.amdhsa_next_free_sgpr 9
		.amdhsa_reserve_vcc 1
		.amdhsa_reserve_flat_scratch 0
		.amdhsa_float_round_mode_32 0
		.amdhsa_float_round_mode_16_64 0
		.amdhsa_float_denorm_mode_32 3
		.amdhsa_float_denorm_mode_16_64 3
		.amdhsa_dx10_clamp 1
		.amdhsa_ieee_mode 1
		.amdhsa_fp16_overflow 0
		.amdhsa_exception_fp_ieee_invalid_op 0
		.amdhsa_exception_fp_denorm_src 0
		.amdhsa_exception_fp_ieee_div_zero 0
		.amdhsa_exception_fp_ieee_overflow 0
		.amdhsa_exception_fp_ieee_underflow 0
		.amdhsa_exception_fp_ieee_inexact 0
		.amdhsa_exception_int_div_zero 0
	.end_amdhsa_kernel
	.text
.Lfunc_end0:
	.size	_Z14fp16_arith_gpuPfS_S_, .Lfunc_end0-_Z14fp16_arith_gpuPfS_S_
                                        ; -- End function
	.set _Z14fp16_arith_gpuPfS_S_.num_vgpr, 11
	.set _Z14fp16_arith_gpuPfS_S_.num_agpr, 0
	.set _Z14fp16_arith_gpuPfS_S_.numbered_sgpr, 9
	.set _Z14fp16_arith_gpuPfS_S_.num_named_barrier, 0
	.set _Z14fp16_arith_gpuPfS_S_.private_seg_size, 0
	.set _Z14fp16_arith_gpuPfS_S_.uses_vcc, 1
	.set _Z14fp16_arith_gpuPfS_S_.uses_flat_scratch, 0
	.set _Z14fp16_arith_gpuPfS_S_.has_dyn_sized_stack, 0
	.set _Z14fp16_arith_gpuPfS_S_.has_recursion, 0
	.set _Z14fp16_arith_gpuPfS_S_.has_indirect_call, 0
	.section	.AMDGPU.csdata,"",@progbits
; Kernel info:
; codeLenInByte = 1112
; TotalNumSgprs: 13
; NumVgprs: 11
; ScratchSize: 0
; MemoryBound: 0
; FloatMode: 240
; IeeeMode: 1
; LDSByteSize: 0 bytes/workgroup (compile time only)
; SGPRBlocks: 1
; VGPRBlocks: 2
; NumSGPRsForWavesPerEU: 13
; NumVGPRsForWavesPerEU: 11
; Occupancy: 10
; WaveLimiterHint : 0
; COMPUTE_PGM_RSRC2:SCRATCH_EN: 0
; COMPUTE_PGM_RSRC2:USER_SGPR: 6
; COMPUTE_PGM_RSRC2:TRAP_HANDLER: 0
; COMPUTE_PGM_RSRC2:TGID_X_EN: 1
; COMPUTE_PGM_RSRC2:TGID_Y_EN: 0
; COMPUTE_PGM_RSRC2:TGID_Z_EN: 0
; COMPUTE_PGM_RSRC2:TIDIG_COMP_CNT: 0
	.text
	.protected	_Z15fp162_arith_gpuP15HIP_vector_typeIfLj2EES1_S1_ ; -- Begin function _Z15fp162_arith_gpuP15HIP_vector_typeIfLj2EES1_S1_
	.globl	_Z15fp162_arith_gpuP15HIP_vector_typeIfLj2EES1_S1_
	.p2align	8
	.type	_Z15fp162_arith_gpuP15HIP_vector_typeIfLj2EES1_S1_,@function
_Z15fp162_arith_gpuP15HIP_vector_typeIfLj2EES1_S1_: ; @_Z15fp162_arith_gpuP15HIP_vector_typeIfLj2EES1_S1_
; %bb.0:
	s_load_dwordx4 s[0:3], s[4:5], 0x0
	s_load_dwordx2 s[6:7], s[4:5], 0x10
	s_waitcnt lgkmcnt(0)
	s_load_dwordx2 s[4:5], s[0:1], 0x0
	s_load_dwordx2 s[8:9], s[2:3], 0x0
	s_waitcnt lgkmcnt(0)
	v_cvt_f16_f32_e32 v0, s4
	v_cvt_f16_f32_e32 v1, s5
	;; [unrolled: 1-line block ×4, first 2 shown]
	s_movk_i32 s4, 0x202c
	v_pack_b32_f16 v0, v0, v1
	s_movk_i32 s5, 0x292d
	v_pack_b32_f16 v1, v2, v3
	v_pk_add_f16 v0, v0, v1
	v_cvt_f32_f16_e32 v1, v0
	v_cvt_f32_f16_sdwa v2, v0 dst_sel:DWORD dst_unused:UNUSED_PAD src0_sel:WORD_1
	v_mov_b32_e32 v0, 0
	s_movk_i32 s8, 0x1f8
	global_store_dwordx2 v0, v[1:2], s[6:7]
	global_load_dwordx2 v[1:2], v0, s[0:1] offset:8
	s_nop 0
	global_load_dwordx2 v[3:4], v0, s[2:3] offset:8
	s_waitcnt vmcnt(1)
	v_cvt_f16_f32_e32 v1, v1
	v_cvt_f16_f32_e32 v2, v2
	s_waitcnt vmcnt(0)
	v_cvt_f16_f32_e32 v3, v3
	v_cvt_f16_f32_e32 v4, v4
	v_pack_b32_f16 v1, v1, v2
	v_pack_b32_f16 v2, v3, v4
	v_pk_add_f16 v2, v1, v2 neg_lo:[0,1] neg_hi:[0,1]
	v_cvt_f32_f16_e32 v1, v2
	v_cvt_f32_f16_sdwa v2, v2 dst_sel:DWORD dst_unused:UNUSED_PAD src0_sel:WORD_1
	global_store_dwordx2 v0, v[1:2], s[6:7] offset:8
	global_load_dwordx2 v[1:2], v0, s[0:1] offset:16
	s_nop 0
	global_load_dwordx2 v[3:4], v0, s[2:3] offset:16
	s_waitcnt vmcnt(1)
	v_cvt_f16_f32_e32 v1, v1
	v_cvt_f16_f32_e32 v2, v2
	s_waitcnt vmcnt(0)
	v_cvt_f16_f32_e32 v3, v3
	v_cvt_f16_f32_e32 v4, v4
	v_pack_b32_f16 v1, v1, v2
	v_pack_b32_f16 v2, v3, v4
	v_pk_mul_f16 v2, v1, v2
	v_cvt_f32_f16_e32 v1, v2
	v_cvt_f32_f16_sdwa v2, v2 dst_sel:DWORD dst_unused:UNUSED_PAD src0_sel:WORD_1
	global_store_dwordx2 v0, v[1:2], s[6:7] offset:16
	global_load_dwordx2 v[1:2], v0, s[2:3] offset:24
	s_nop 0
	global_load_dwordx2 v[3:4], v0, s[0:1] offset:24
	s_mov_b32 s2, 0xbfc90000
	s_mov_b32 s3, 0xb5aa2217
	s_waitcnt vmcnt(1)
	v_cvt_f16_f32_e32 v2, v2
	v_cvt_f16_f32_e32 v1, v1
	s_waitcnt vmcnt(0)
	v_cvt_f16_f32_e32 v4, v4
	v_cvt_f16_f32_e32 v3, v3
	v_cvt_f32_f16_e32 v5, v2
	v_cvt_f32_f16_e32 v6, v1
	;; [unrolled: 1-line block ×4, first 2 shown]
	v_rcp_f32_e32 v9, v5
	v_rcp_f32_e32 v10, v6
	v_mul_f32_e32 v11, v7, v9
	v_mul_f32_e32 v12, v8, v10
	v_mad_f32 v13, -v5, v11, v7
	v_mad_f32 v14, -v6, v12, v8
	v_mac_f32_e32 v11, v13, v9
	v_mac_f32_e32 v12, v14, v10
	v_mad_f32 v5, -v5, v11, v7
	v_mad_f32 v6, -v6, v12, v8
	v_mul_f32_e32 v5, v5, v9
	v_mul_f32_e32 v6, v6, v10
	v_and_b32_e32 v5, 0xff800000, v5
	v_and_b32_e32 v6, 0xff800000, v6
	v_add_f32_e32 v5, v5, v11
	v_add_f32_e32 v6, v6, v12
	v_cvt_f16_f32_e32 v5, v5
	v_cvt_f16_f32_e32 v6, v6
	v_div_fixup_f16 v2, v5, v2, v4
	v_div_fixup_f16 v1, v6, v1, v3
	v_cvt_f32_f16_e32 v1, v1
	v_cvt_f32_f16_e32 v2, v2
	global_store_dwordx2 v0, v[1:2], s[6:7] offset:24
	global_load_dwordx2 v[1:2], v0, s[0:1] offset:32
	s_waitcnt vmcnt(0)
	v_cvt_f16_f32_e32 v2, v2
	v_cvt_f16_f32_e32 v1, v1
	v_floor_f16_e32 v2, v2
	v_floor_f16_e32 v1, v1
	v_cvt_f32_f16_e32 v1, v1
	v_cvt_f32_f16_e32 v2, v2
	global_store_dwordx2 v0, v[1:2], s[6:7] offset:32
	global_load_dwordx2 v[1:2], v0, s[0:1] offset:40
	s_waitcnt vmcnt(0)
	v_cvt_f16_f32_e32 v2, v2
	v_cvt_f16_f32_e32 v1, v1
	v_trunc_f16_e32 v2, v2
	v_trunc_f16_e32 v1, v1
	v_cvt_f32_f16_e32 v1, v1
	v_cvt_f32_f16_e32 v2, v2
	global_store_dwordx2 v0, v[1:2], s[6:7] offset:40
	global_load_dwordx2 v[1:2], v0, s[0:1] offset:48
	s_waitcnt vmcnt(0)
	v_cvt_f16_f32_e32 v2, v2
	v_cvt_f16_f32_e32 v1, v1
	v_ceil_f16_e32 v2, v2
	v_ceil_f16_e32 v1, v1
	v_cvt_f32_f16_e32 v1, v1
	v_cvt_f32_f16_e32 v2, v2
	global_store_dwordx2 v0, v[1:2], s[6:7] offset:48
	global_load_dwordx2 v[1:2], v0, s[0:1] offset:56
	s_waitcnt vmcnt(0)
	v_cvt_f16_f32_e32 v2, v2
	v_cvt_f16_f32_e32 v1, v1
	v_rndne_f16_e32 v2, v2
	v_rndne_f16_e32 v1, v1
	v_cvt_f32_f16_e32 v1, v1
	v_cvt_f32_f16_e32 v2, v2
	global_store_dwordx2 v0, v[1:2], s[6:7] offset:56
	global_load_dwordx2 v[3:4], v0, s[0:1] offset:64
	v_mov_b32_e32 v2, 0xb155
	v_mov_b32_e32 v1, 0x7e00
	s_waitcnt vmcnt(0)
	v_cvt_f16_f32_e32 v5, v3
	v_cvt_f16_f32_e32 v4, v4
	v_mov_b32_e32 v3, 0xb7ff
	v_cvt_f32_f16_e64 v6, |v5|
	v_cvt_f32_f16_e64 v7, |v4|
	v_cmp_class_f16_e64 vcc, v5, s8
	v_mul_f32_e32 v6, 0x3f22f983, v6
	v_mul_f32_e32 v7, 0x3f22f983, v7
	v_rndne_f32_e32 v6, v6
	v_rndne_f32_e32 v7, v7
	v_fma_mix_f32 v8, v6, s2, |v5| op_sel_hi:[0,0,1]
	v_fma_mix_f32 v10, v7, s2, |v4| op_sel_hi:[0,0,1]
	v_fmac_f32_e32 v8, 0xb9fd0000, v6
	v_cvt_i32_f32_e32 v9, v6
	v_fmac_f32_e32 v10, 0xb9fd0000, v7
	v_fma_mixlo_f16 v6, v6, s3, v8
	v_cvt_i32_f32_e32 v11, v7
	v_fma_mixlo_f16 v7, v7, s3, v10
	v_mul_f16_e32 v8, v6, v6
	v_mul_f16_e32 v10, v7, v7
	v_fma_f16 v12, v8, s4, v2
	v_fma_f16 v13, v8, s5, v3
	;; [unrolled: 1-line block ×4, first 2 shown]
	v_mul_f16_e32 v12, v8, v12
	v_fma_f16 v8, v8, v13, 1.0
	v_lshlrev_b32_e32 v14, 4, v9
	v_lshlrev_b32_e32 v9, 14, v9
	v_mul_f16_e32 v13, v10, v15
	v_fma_f16 v10, v10, v16, 1.0
	v_fma_f16 v6, v6, v12, v6
	v_lshlrev_b32_e32 v8, 16, v8
	v_lshlrev_b32_e32 v17, 4, v11
	;; [unrolled: 1-line block ×3, first 2 shown]
	v_xor_b32_e32 v9, v9, v5
	v_fma_f16 v7, v7, v13, v7
	v_lshlrev_b32_e32 v10, 16, v10
	v_or_b32_sdwa v6, v8, v6 dst_sel:DWORD dst_unused:UNUSED_PAD src0_sel:DWORD src1_sel:WORD_0
	v_xor_b32_e32 v11, v11, v4
	v_and_b32_e32 v9, 0x8000, v9
	v_or_b32_sdwa v7, v10, v7 dst_sel:DWORD dst_unused:UNUSED_PAD src0_sel:DWORD src1_sel:WORD_0
	v_lshrrev_b32_e32 v6, v14, v6
	v_and_b32_e32 v11, 0x8000, v11
	v_lshrrev_b32_e32 v7, v17, v7
	v_xor_b32_e32 v6, v9, v6
	v_xor_b32_e32 v7, v11, v7
	v_cndmask_b32_e32 v5, v1, v6, vcc
	v_cmp_class_f16_e64 vcc, v4, s8
	v_cndmask_b32_e32 v6, v1, v7, vcc
	v_cvt_f32_f16_e32 v4, v5
	v_cvt_f32_f16_e32 v5, v6
	global_store_dwordx2 v0, v[4:5], s[6:7] offset:64
	global_load_dwordx2 v[4:5], v0, s[0:1] offset:72
	s_waitcnt vmcnt(0)
	v_cvt_f16_f32_e32 v4, v4
	v_cvt_f16_f32_e32 v5, v5
	v_cvt_f32_f16_e64 v6, |v4|
	v_cvt_f32_f16_e64 v7, |v5|
	v_mul_f32_e32 v6, 0x3f22f983, v6
	v_mul_f32_e32 v7, 0x3f22f983, v7
	v_rndne_f32_e32 v6, v6
	v_rndne_f32_e32 v7, v7
	v_fma_mix_f32 v8, v6, s2, |v4| op_sel_hi:[0,0,1]
	v_fma_mix_f32 v10, v7, s2, |v5| op_sel_hi:[0,0,1]
	v_fmac_f32_e32 v8, 0xb9fd0000, v6
	v_cvt_i32_f32_e32 v9, v6
	v_fmac_f32_e32 v10, 0xb9fd0000, v7
	v_fma_mixlo_f16 v6, v6, s3, v8
	v_cvt_i32_f32_e32 v11, v7
	v_fma_mixlo_f16 v7, v7, s3, v10
	v_mul_f16_e32 v8, v6, v6
	v_mul_f16_e32 v10, v7, v7
	v_fma_f16 v12, v8, s4, v2
	v_fma_f16 v2, v10, s4, v2
	v_mul_f16_e32 v12, v8, v12
	v_fma_f16 v13, v8, s5, v3
	v_and_b32_e32 v14, 1, v9
	v_mul_f16_e32 v2, v10, v2
	v_fma_f16 v6, v6, v12, v6
	v_lshlrev_b32_e32 v9, 14, v9
	v_fma_f16 v3, v10, s5, v3
	v_and_b32_e32 v15, 1, v11
	v_fma_f16 v8, v8, v13, 1.0
	v_fma_f16 v2, v7, v2, v7
	v_xor_b32_e32 v6, 0x8000, v6
	v_cmp_eq_u32_e32 vcc, 0, v14
	v_lshlrev_b32_e32 v11, 14, v11
	v_and_b32_e32 v9, 0x8000, v9
	v_fma_f16 v3, v10, v3, 1.0
	v_xor_b32_e32 v2, 0x8000, v2
	v_cndmask_b32_e32 v6, v6, v8, vcc
	v_cmp_eq_u32_e32 vcc, 0, v15
	v_and_b32_e32 v10, 0x8000, v11
	v_cndmask_b32_e32 v2, v2, v3, vcc
	v_xor_b32_e32 v3, v9, v6
	v_cmp_class_f16_e64 vcc, v4, s8
	v_xor_b32_e32 v2, v10, v2
	v_cndmask_b32_e32 v3, v1, v3, vcc
	v_cmp_class_f16_e64 vcc, v5, s8
	v_cndmask_b32_e32 v2, v1, v2, vcc
	v_cvt_f32_f16_e32 v1, v3
	v_cvt_f32_f16_e32 v2, v2
	s_mov_b32 s2, 0x3f317218
	global_store_dwordx2 v0, v[1:2], s[6:7] offset:72
	global_load_dwordx2 v[1:2], v0, s[0:1] offset:80
	s_waitcnt vmcnt(0)
	v_cvt_f16_f32_e32 v1, v1
	v_cvt_f16_f32_e32 v2, v2
	v_cvt_f32_f16_e32 v1, v1
	v_cvt_f32_f16_e32 v2, v2
	v_mul_f32_e32 v1, 0x3fb8aa3b, v1
	v_mul_f32_e32 v2, 0x3fb8aa3b, v2
	v_exp_f32_e32 v1, v1
	v_exp_f32_e32 v2, v2
	v_cvt_f16_f32_e32 v1, v1
	v_cvt_f16_f32_e32 v2, v2
	v_cvt_f32_f16_e32 v1, v1
	v_cvt_f32_f16_e32 v2, v2
	global_store_dwordx2 v0, v[1:2], s[6:7] offset:80
	global_load_dwordx2 v[1:2], v0, s[0:1] offset:88
	s_waitcnt vmcnt(0)
	v_cvt_f16_f32_e32 v1, v1
	v_cvt_f16_f32_e32 v2, v2
	v_exp_f16_e32 v1, v1
	v_exp_f16_e32 v2, v2
	v_cvt_f32_f16_e32 v1, v1
	v_cvt_f32_f16_e32 v2, v2
	global_store_dwordx2 v0, v[1:2], s[6:7] offset:88
	global_load_dwordx2 v[1:2], v0, s[0:1] offset:96
	s_waitcnt vmcnt(0)
	v_cvt_f16_f32_e32 v1, v1
	v_cvt_f16_f32_e32 v2, v2
	v_log_f16_e32 v1, v1
	v_log_f16_e32 v2, v2
	v_cvt_f32_f16_e32 v1, v1
	v_cvt_f32_f16_e32 v2, v2
	global_store_dwordx2 v0, v[1:2], s[6:7] offset:96
	global_load_dwordx2 v[1:2], v0, s[0:1] offset:104
	s_waitcnt vmcnt(0)
	v_cvt_f16_f32_e32 v1, v1
	v_cvt_f16_f32_e32 v2, v2
	v_cvt_f32_f16_e32 v1, v1
	v_cvt_f32_f16_e32 v2, v2
	v_log_f32_e32 v1, v1
	v_log_f32_e32 v2, v2
	v_fma_mixlo_f16 v1, v1, s2, 0
	v_fma_mixlo_f16 v2, v2, s2, 0
	v_cvt_f32_f16_e32 v1, v1
	v_cvt_f32_f16_e32 v2, v2
	s_mov_b32 s2, 0x3e9a209b
	global_store_dwordx2 v0, v[1:2], s[6:7] offset:104
	global_load_dwordx2 v[1:2], v0, s[0:1] offset:112
	s_waitcnt vmcnt(0)
	v_cvt_f16_f32_e32 v1, v1
	v_cvt_f16_f32_e32 v2, v2
	v_cvt_f32_f16_e32 v1, v1
	v_cvt_f32_f16_e32 v2, v2
	v_log_f32_e32 v1, v1
	v_log_f32_e32 v2, v2
	v_fma_mixlo_f16 v1, v1, s2, 0
	v_fma_mixlo_f16 v2, v2, s2, 0
	v_cvt_f32_f16_e32 v1, v1
	v_cvt_f32_f16_e32 v2, v2
	global_store_dwordx2 v0, v[1:2], s[6:7] offset:112
	global_load_dwordx2 v[1:2], v0, s[0:1] offset:120
	s_waitcnt vmcnt(0)
	v_cvt_f16_f32_e32 v1, v1
	v_cvt_f16_f32_e32 v2, v2
	v_sqrt_f16_e32 v1, v1
	v_sqrt_f16_e32 v2, v2
	v_cvt_f32_f16_e32 v1, v1
	v_cvt_f32_f16_e32 v2, v2
	global_store_dwordx2 v0, v[1:2], s[6:7] offset:120
	global_load_dwordx2 v[1:2], v0, s[0:1] offset:128
	s_waitcnt vmcnt(0)
	v_cvt_f16_f32_e64 v1, -v1
	v_cvt_f16_f32_e64 v2, -v2
	v_cvt_f32_f16_e32 v1, v1
	v_cvt_f32_f16_e32 v2, v2
	global_store_dwordx2 v0, v[1:2], s[6:7] offset:128
	global_load_dwordx2 v[1:2], v0, s[0:1] offset:136
	s_waitcnt vmcnt(0)
	v_cvt_f16_f32_e32 v1, v1
	v_cvt_f16_f32_e32 v2, v2
	v_rcp_f16_e32 v1, v1
	v_rcp_f16_e32 v2, v2
	v_cvt_f32_f16_e32 v1, v1
	v_cvt_f32_f16_e32 v2, v2
	global_store_dwordx2 v0, v[1:2], s[6:7] offset:136
	s_endpgm
	.section	.rodata,"a",@progbits
	.p2align	6, 0x0
	.amdhsa_kernel _Z15fp162_arith_gpuP15HIP_vector_typeIfLj2EES1_S1_
		.amdhsa_group_segment_fixed_size 0
		.amdhsa_private_segment_fixed_size 0
		.amdhsa_kernarg_size 24
		.amdhsa_user_sgpr_count 6
		.amdhsa_user_sgpr_private_segment_buffer 1
		.amdhsa_user_sgpr_dispatch_ptr 0
		.amdhsa_user_sgpr_queue_ptr 0
		.amdhsa_user_sgpr_kernarg_segment_ptr 1
		.amdhsa_user_sgpr_dispatch_id 0
		.amdhsa_user_sgpr_flat_scratch_init 0
		.amdhsa_user_sgpr_private_segment_size 0
		.amdhsa_uses_dynamic_stack 0
		.amdhsa_system_sgpr_private_segment_wavefront_offset 0
		.amdhsa_system_sgpr_workgroup_id_x 1
		.amdhsa_system_sgpr_workgroup_id_y 0
		.amdhsa_system_sgpr_workgroup_id_z 0
		.amdhsa_system_sgpr_workgroup_info 0
		.amdhsa_system_vgpr_workitem_id 0
		.amdhsa_next_free_vgpr 18
		.amdhsa_next_free_sgpr 10
		.amdhsa_reserve_vcc 1
		.amdhsa_reserve_flat_scratch 0
		.amdhsa_float_round_mode_32 0
		.amdhsa_float_round_mode_16_64 0
		.amdhsa_float_denorm_mode_32 3
		.amdhsa_float_denorm_mode_16_64 3
		.amdhsa_dx10_clamp 1
		.amdhsa_ieee_mode 1
		.amdhsa_fp16_overflow 0
		.amdhsa_exception_fp_ieee_invalid_op 0
		.amdhsa_exception_fp_denorm_src 0
		.amdhsa_exception_fp_ieee_div_zero 0
		.amdhsa_exception_fp_ieee_overflow 0
		.amdhsa_exception_fp_ieee_underflow 0
		.amdhsa_exception_fp_ieee_inexact 0
		.amdhsa_exception_int_div_zero 0
	.end_amdhsa_kernel
	.text
.Lfunc_end1:
	.size	_Z15fp162_arith_gpuP15HIP_vector_typeIfLj2EES1_S1_, .Lfunc_end1-_Z15fp162_arith_gpuP15HIP_vector_typeIfLj2EES1_S1_
                                        ; -- End function
	.set _Z15fp162_arith_gpuP15HIP_vector_typeIfLj2EES1_S1_.num_vgpr, 18
	.set _Z15fp162_arith_gpuP15HIP_vector_typeIfLj2EES1_S1_.num_agpr, 0
	.set _Z15fp162_arith_gpuP15HIP_vector_typeIfLj2EES1_S1_.numbered_sgpr, 10
	.set _Z15fp162_arith_gpuP15HIP_vector_typeIfLj2EES1_S1_.num_named_barrier, 0
	.set _Z15fp162_arith_gpuP15HIP_vector_typeIfLj2EES1_S1_.private_seg_size, 0
	.set _Z15fp162_arith_gpuP15HIP_vector_typeIfLj2EES1_S1_.uses_vcc, 1
	.set _Z15fp162_arith_gpuP15HIP_vector_typeIfLj2EES1_S1_.uses_flat_scratch, 0
	.set _Z15fp162_arith_gpuP15HIP_vector_typeIfLj2EES1_S1_.has_dyn_sized_stack, 0
	.set _Z15fp162_arith_gpuP15HIP_vector_typeIfLj2EES1_S1_.has_recursion, 0
	.set _Z15fp162_arith_gpuP15HIP_vector_typeIfLj2EES1_S1_.has_indirect_call, 0
	.section	.AMDGPU.csdata,"",@progbits
; Kernel info:
; codeLenInByte = 1772
; TotalNumSgprs: 14
; NumVgprs: 18
; ScratchSize: 0
; MemoryBound: 0
; FloatMode: 240
; IeeeMode: 1
; LDSByteSize: 0 bytes/workgroup (compile time only)
; SGPRBlocks: 1
; VGPRBlocks: 4
; NumSGPRsForWavesPerEU: 14
; NumVGPRsForWavesPerEU: 18
; Occupancy: 10
; WaveLimiterHint : 0
; COMPUTE_PGM_RSRC2:SCRATCH_EN: 0
; COMPUTE_PGM_RSRC2:USER_SGPR: 6
; COMPUTE_PGM_RSRC2:TRAP_HANDLER: 0
; COMPUTE_PGM_RSRC2:TGID_X_EN: 1
; COMPUTE_PGM_RSRC2:TGID_Y_EN: 0
; COMPUTE_PGM_RSRC2:TGID_Z_EN: 0
; COMPUTE_PGM_RSRC2:TIDIG_COMP_CNT: 0
	.section	.AMDGPU.gpr_maximums,"",@progbits
	.set amdgpu.max_num_vgpr, 0
	.set amdgpu.max_num_agpr, 0
	.set amdgpu.max_num_sgpr, 0
	.section	.AMDGPU.csdata,"",@progbits
	.type	__hip_cuid_ae9aa9d4ba55bb4,@object ; @__hip_cuid_ae9aa9d4ba55bb4
	.section	.bss,"aw",@nobits
	.globl	__hip_cuid_ae9aa9d4ba55bb4
__hip_cuid_ae9aa9d4ba55bb4:
	.byte	0                               ; 0x0
	.size	__hip_cuid_ae9aa9d4ba55bb4, 1

	.ident	"AMD clang version 22.0.0git (https://github.com/RadeonOpenCompute/llvm-project roc-7.2.4 26084 f58b06dce1f9c15707c5f808fd002e18c2accf7e)"
	.section	".note.GNU-stack","",@progbits
	.addrsig
	.addrsig_sym __hip_cuid_ae9aa9d4ba55bb4
	.amdgpu_metadata
---
amdhsa.kernels:
  - .args:
      - .address_space:  global
        .offset:         0
        .size:           8
        .value_kind:     global_buffer
      - .address_space:  global
        .offset:         8
        .size:           8
        .value_kind:     global_buffer
      - .address_space:  global
        .offset:         16
        .size:           8
        .value_kind:     global_buffer
    .group_segment_fixed_size: 0
    .kernarg_segment_align: 8
    .kernarg_segment_size: 24
    .language:       OpenCL C
    .language_version:
      - 2
      - 0
    .max_flat_workgroup_size: 1024
    .name:           _Z14fp16_arith_gpuPfS_S_
    .private_segment_fixed_size: 0
    .sgpr_count:     13
    .sgpr_spill_count: 0
    .symbol:         _Z14fp16_arith_gpuPfS_S_.kd
    .uniform_work_group_size: 1
    .uses_dynamic_stack: false
    .vgpr_count:     11
    .vgpr_spill_count: 0
    .wavefront_size: 64
  - .args:
      - .address_space:  global
        .offset:         0
        .size:           8
        .value_kind:     global_buffer
      - .address_space:  global
        .offset:         8
        .size:           8
        .value_kind:     global_buffer
      - .address_space:  global
        .offset:         16
        .size:           8
        .value_kind:     global_buffer
    .group_segment_fixed_size: 0
    .kernarg_segment_align: 8
    .kernarg_segment_size: 24
    .language:       OpenCL C
    .language_version:
      - 2
      - 0
    .max_flat_workgroup_size: 1024
    .name:           _Z15fp162_arith_gpuP15HIP_vector_typeIfLj2EES1_S1_
    .private_segment_fixed_size: 0
    .sgpr_count:     14
    .sgpr_spill_count: 0
    .symbol:         _Z15fp162_arith_gpuP15HIP_vector_typeIfLj2EES1_S1_.kd
    .uniform_work_group_size: 1
    .uses_dynamic_stack: false
    .vgpr_count:     18
    .vgpr_spill_count: 0
    .wavefront_size: 64
amdhsa.target:   amdgcn-amd-amdhsa--gfx906
amdhsa.version:
  - 1
  - 2
...

	.end_amdgpu_metadata
